;; amdgpu-corpus repo=ROCm/rocFFT kind=compiled arch=gfx906 opt=O3
	.text
	.amdgcn_target "amdgcn-amd-amdhsa--gfx906"
	.amdhsa_code_object_version 6
	.protected	fft_rtc_back_len280_factors_8_7_5_wgs_56_tpt_56_sp_ip_CI_unitstride_sbrr_C2R_dirReg ; -- Begin function fft_rtc_back_len280_factors_8_7_5_wgs_56_tpt_56_sp_ip_CI_unitstride_sbrr_C2R_dirReg
	.globl	fft_rtc_back_len280_factors_8_7_5_wgs_56_tpt_56_sp_ip_CI_unitstride_sbrr_C2R_dirReg
	.p2align	8
	.type	fft_rtc_back_len280_factors_8_7_5_wgs_56_tpt_56_sp_ip_CI_unitstride_sbrr_C2R_dirReg,@function
fft_rtc_back_len280_factors_8_7_5_wgs_56_tpt_56_sp_ip_CI_unitstride_sbrr_C2R_dirReg: ; @fft_rtc_back_len280_factors_8_7_5_wgs_56_tpt_56_sp_ip_CI_unitstride_sbrr_C2R_dirReg
; %bb.0:
	s_load_dwordx2 s[2:3], s[4:5], 0x50
	s_load_dwordx4 s[8:11], s[4:5], 0x0
	s_load_dwordx2 s[12:13], s[4:5], 0x18
	v_mul_u32_u24_e32 v1, 0x493, v0
	v_add_u32_sdwa v5, s6, v1 dst_sel:DWORD dst_unused:UNUSED_PAD src0_sel:DWORD src1_sel:WORD_1
	v_mov_b32_e32 v3, 0
	s_waitcnt lgkmcnt(0)
	v_cmp_lt_u64_e64 s[0:1], s[10:11], 2
	v_mov_b32_e32 v1, 0
	v_mov_b32_e32 v6, v3
	s_and_b64 vcc, exec, s[0:1]
	v_mov_b32_e32 v2, 0
	s_cbranch_vccnz .LBB0_8
; %bb.1:
	s_load_dwordx2 s[0:1], s[4:5], 0x10
	s_add_u32 s6, s12, 8
	s_addc_u32 s7, s13, 0
	v_mov_b32_e32 v1, 0
	v_mov_b32_e32 v2, 0
	s_waitcnt lgkmcnt(0)
	s_add_u32 s14, s0, 8
	s_addc_u32 s15, s1, 0
	s_mov_b64 s[16:17], 1
.LBB0_2:                                ; =>This Inner Loop Header: Depth=1
	s_load_dwordx2 s[18:19], s[14:15], 0x0
                                        ; implicit-def: $vgpr7_vgpr8
	s_waitcnt lgkmcnt(0)
	v_or_b32_e32 v4, s19, v6
	v_cmp_ne_u64_e32 vcc, 0, v[3:4]
	s_and_saveexec_b64 s[0:1], vcc
	s_xor_b64 s[20:21], exec, s[0:1]
	s_cbranch_execz .LBB0_4
; %bb.3:                                ;   in Loop: Header=BB0_2 Depth=1
	v_cvt_f32_u32_e32 v4, s18
	v_cvt_f32_u32_e32 v7, s19
	s_sub_u32 s0, 0, s18
	s_subb_u32 s1, 0, s19
	v_mac_f32_e32 v4, 0x4f800000, v7
	v_rcp_f32_e32 v4, v4
	v_mul_f32_e32 v4, 0x5f7ffffc, v4
	v_mul_f32_e32 v7, 0x2f800000, v4
	v_trunc_f32_e32 v7, v7
	v_mac_f32_e32 v4, 0xcf800000, v7
	v_cvt_u32_f32_e32 v7, v7
	v_cvt_u32_f32_e32 v4, v4
	v_mul_lo_u32 v8, s0, v7
	v_mul_hi_u32 v9, s0, v4
	v_mul_lo_u32 v11, s1, v4
	v_mul_lo_u32 v10, s0, v4
	v_add_u32_e32 v8, v9, v8
	v_add_u32_e32 v8, v8, v11
	v_mul_hi_u32 v9, v4, v10
	v_mul_lo_u32 v11, v4, v8
	v_mul_hi_u32 v13, v4, v8
	v_mul_hi_u32 v12, v7, v10
	v_mul_lo_u32 v10, v7, v10
	v_mul_hi_u32 v14, v7, v8
	v_add_co_u32_e32 v9, vcc, v9, v11
	v_addc_co_u32_e32 v11, vcc, 0, v13, vcc
	v_mul_lo_u32 v8, v7, v8
	v_add_co_u32_e32 v9, vcc, v9, v10
	v_addc_co_u32_e32 v9, vcc, v11, v12, vcc
	v_addc_co_u32_e32 v10, vcc, 0, v14, vcc
	v_add_co_u32_e32 v8, vcc, v9, v8
	v_addc_co_u32_e32 v9, vcc, 0, v10, vcc
	v_add_co_u32_e32 v4, vcc, v4, v8
	v_addc_co_u32_e32 v7, vcc, v7, v9, vcc
	v_mul_lo_u32 v8, s0, v7
	v_mul_hi_u32 v9, s0, v4
	v_mul_lo_u32 v10, s1, v4
	v_mul_lo_u32 v11, s0, v4
	v_add_u32_e32 v8, v9, v8
	v_add_u32_e32 v8, v8, v10
	v_mul_lo_u32 v12, v4, v8
	v_mul_hi_u32 v13, v4, v11
	v_mul_hi_u32 v14, v4, v8
	;; [unrolled: 1-line block ×3, first 2 shown]
	v_mul_lo_u32 v11, v7, v11
	v_mul_hi_u32 v9, v7, v8
	v_add_co_u32_e32 v12, vcc, v13, v12
	v_addc_co_u32_e32 v13, vcc, 0, v14, vcc
	v_mul_lo_u32 v8, v7, v8
	v_add_co_u32_e32 v11, vcc, v12, v11
	v_addc_co_u32_e32 v10, vcc, v13, v10, vcc
	v_addc_co_u32_e32 v9, vcc, 0, v9, vcc
	v_add_co_u32_e32 v8, vcc, v10, v8
	v_addc_co_u32_e32 v9, vcc, 0, v9, vcc
	v_add_co_u32_e32 v4, vcc, v4, v8
	v_addc_co_u32_e32 v9, vcc, v7, v9, vcc
	v_mad_u64_u32 v[7:8], s[0:1], v5, v9, 0
	v_mul_hi_u32 v10, v5, v4
	v_add_co_u32_e32 v11, vcc, v10, v7
	v_addc_co_u32_e32 v12, vcc, 0, v8, vcc
	v_mad_u64_u32 v[7:8], s[0:1], v6, v4, 0
	v_mad_u64_u32 v[9:10], s[0:1], v6, v9, 0
	v_add_co_u32_e32 v4, vcc, v11, v7
	v_addc_co_u32_e32 v4, vcc, v12, v8, vcc
	v_addc_co_u32_e32 v7, vcc, 0, v10, vcc
	v_add_co_u32_e32 v4, vcc, v4, v9
	v_addc_co_u32_e32 v9, vcc, 0, v7, vcc
	v_mul_lo_u32 v10, s19, v4
	v_mul_lo_u32 v11, s18, v9
	v_mad_u64_u32 v[7:8], s[0:1], s18, v4, 0
	v_add3_u32 v8, v8, v11, v10
	v_sub_u32_e32 v10, v6, v8
	v_mov_b32_e32 v11, s19
	v_sub_co_u32_e32 v7, vcc, v5, v7
	v_subb_co_u32_e64 v10, s[0:1], v10, v11, vcc
	v_subrev_co_u32_e64 v11, s[0:1], s18, v7
	v_subbrev_co_u32_e64 v10, s[0:1], 0, v10, s[0:1]
	v_cmp_le_u32_e64 s[0:1], s19, v10
	v_cndmask_b32_e64 v12, 0, -1, s[0:1]
	v_cmp_le_u32_e64 s[0:1], s18, v11
	v_cndmask_b32_e64 v11, 0, -1, s[0:1]
	v_cmp_eq_u32_e64 s[0:1], s19, v10
	v_cndmask_b32_e64 v10, v12, v11, s[0:1]
	v_add_co_u32_e64 v11, s[0:1], 2, v4
	v_addc_co_u32_e64 v12, s[0:1], 0, v9, s[0:1]
	v_add_co_u32_e64 v13, s[0:1], 1, v4
	v_addc_co_u32_e64 v14, s[0:1], 0, v9, s[0:1]
	v_subb_co_u32_e32 v8, vcc, v6, v8, vcc
	v_cmp_ne_u32_e64 s[0:1], 0, v10
	v_cmp_le_u32_e32 vcc, s19, v8
	v_cndmask_b32_e64 v10, v14, v12, s[0:1]
	v_cndmask_b32_e64 v12, 0, -1, vcc
	v_cmp_le_u32_e32 vcc, s18, v7
	v_cndmask_b32_e64 v7, 0, -1, vcc
	v_cmp_eq_u32_e32 vcc, s19, v8
	v_cndmask_b32_e32 v7, v12, v7, vcc
	v_cmp_ne_u32_e32 vcc, 0, v7
	v_cndmask_b32_e64 v7, v13, v11, s[0:1]
	v_cndmask_b32_e32 v8, v9, v10, vcc
	v_cndmask_b32_e32 v7, v4, v7, vcc
.LBB0_4:                                ;   in Loop: Header=BB0_2 Depth=1
	s_andn2_saveexec_b64 s[0:1], s[20:21]
	s_cbranch_execz .LBB0_6
; %bb.5:                                ;   in Loop: Header=BB0_2 Depth=1
	v_cvt_f32_u32_e32 v4, s18
	s_sub_i32 s20, 0, s18
	v_rcp_iflag_f32_e32 v4, v4
	v_mul_f32_e32 v4, 0x4f7ffffe, v4
	v_cvt_u32_f32_e32 v4, v4
	v_mul_lo_u32 v7, s20, v4
	v_mul_hi_u32 v7, v4, v7
	v_add_u32_e32 v4, v4, v7
	v_mul_hi_u32 v4, v5, v4
	v_mul_lo_u32 v7, v4, s18
	v_add_u32_e32 v8, 1, v4
	v_sub_u32_e32 v7, v5, v7
	v_subrev_u32_e32 v9, s18, v7
	v_cmp_le_u32_e32 vcc, s18, v7
	v_cndmask_b32_e32 v7, v7, v9, vcc
	v_cndmask_b32_e32 v4, v4, v8, vcc
	v_add_u32_e32 v8, 1, v4
	v_cmp_le_u32_e32 vcc, s18, v7
	v_cndmask_b32_e32 v7, v4, v8, vcc
	v_mov_b32_e32 v8, v3
.LBB0_6:                                ;   in Loop: Header=BB0_2 Depth=1
	s_or_b64 exec, exec, s[0:1]
	v_mul_lo_u32 v4, v8, s18
	v_mul_lo_u32 v11, v7, s19
	v_mad_u64_u32 v[9:10], s[0:1], v7, s18, 0
	s_load_dwordx2 s[0:1], s[6:7], 0x0
	s_add_u32 s16, s16, 1
	v_add3_u32 v4, v10, v11, v4
	v_sub_co_u32_e32 v5, vcc, v5, v9
	v_subb_co_u32_e32 v4, vcc, v6, v4, vcc
	s_waitcnt lgkmcnt(0)
	v_mul_lo_u32 v4, s0, v4
	v_mul_lo_u32 v6, s1, v5
	v_mad_u64_u32 v[1:2], s[0:1], s0, v5, v[1:2]
	s_addc_u32 s17, s17, 0
	s_add_u32 s6, s6, 8
	v_add3_u32 v2, v6, v2, v4
	v_mov_b32_e32 v4, s10
	v_mov_b32_e32 v5, s11
	s_addc_u32 s7, s7, 0
	v_cmp_ge_u64_e32 vcc, s[16:17], v[4:5]
	s_add_u32 s14, s14, 8
	s_addc_u32 s15, s15, 0
	s_cbranch_vccnz .LBB0_9
; %bb.7:                                ;   in Loop: Header=BB0_2 Depth=1
	v_mov_b32_e32 v5, v7
	v_mov_b32_e32 v6, v8
	s_branch .LBB0_2
.LBB0_8:
	v_mov_b32_e32 v8, v6
	v_mov_b32_e32 v7, v5
.LBB0_9:
	s_lshl_b64 s[0:1], s[10:11], 3
	s_add_u32 s0, s12, s0
	s_addc_u32 s1, s13, s1
	s_load_dwordx2 s[6:7], s[0:1], 0x0
	s_load_dwordx2 s[10:11], s[4:5], 0x20
	s_waitcnt lgkmcnt(0)
	v_mad_u64_u32 v[1:2], s[0:1], s6, v7, v[1:2]
	v_mul_lo_u32 v3, s6, v8
	v_mul_lo_u32 v4, s7, v7
	s_mov_b32 s0, 0x4924925
	v_mul_hi_u32 v5, v0, s0
	v_cmp_gt_u64_e32 vcc, s[10:11], v[7:8]
	v_add3_u32 v2, v4, v2, v3
	v_lshlrev_b64 v[14:15], 3, v[1:2]
	v_mul_u32_u24_e32 v3, 56, v5
	v_sub_u32_e32 v12, v0, v3
	s_and_saveexec_b64 s[4:5], vcc
	s_cbranch_execz .LBB0_13
; %bb.10:
	v_mov_b32_e32 v13, 0
	v_mov_b32_e32 v1, s3
	v_add_co_u32_e64 v0, s[0:1], s2, v14
	v_lshlrev_b64 v[2:3], 3, v[12:13]
	v_addc_co_u32_e64 v1, s[0:1], v1, v15, s[0:1]
	v_add_co_u32_e64 v2, s[0:1], v0, v2
	v_addc_co_u32_e64 v3, s[0:1], v1, v3, s[0:1]
	global_load_dwordx2 v[4:5], v[2:3], off
	global_load_dwordx2 v[6:7], v[2:3], off offset:448
	global_load_dwordx2 v[8:9], v[2:3], off offset:896
	;; [unrolled: 1-line block ×4, first 2 shown]
	v_lshl_add_u32 v2, v12, 3, 0
	v_cmp_eq_u32_e64 s[0:1], 55, v12
	s_waitcnt vmcnt(3)
	ds_write2_b64 v2, v[4:5], v[6:7] offset1:56
	s_waitcnt vmcnt(1)
	ds_write2_b64 v2, v[8:9], v[10:11] offset0:112 offset1:168
	s_waitcnt vmcnt(0)
	ds_write_b64 v2, v[16:17] offset:1792
	s_and_saveexec_b64 s[6:7], s[0:1]
	s_cbranch_execz .LBB0_12
; %bb.11:
	global_load_dwordx2 v[0:1], v[0:1], off offset:2240
	v_mov_b32_e32 v12, 55
	s_waitcnt vmcnt(0)
	ds_write_b64 v13, v[0:1] offset:2240
.LBB0_12:
	s_or_b64 exec, exec, s[6:7]
.LBB0_13:
	s_or_b64 exec, exec, s[4:5]
	v_lshlrev_b32_e32 v0, 3, v12
	v_add_u32_e32 v20, 0, v0
	s_waitcnt lgkmcnt(0)
	; wave barrier
	s_waitcnt lgkmcnt(0)
	v_sub_u32_e32 v4, 0, v0
	ds_read_b32 v1, v20
	ds_read_b32 v2, v4 offset:2240
	v_cmp_ne_u32_e64 s[0:1], 0, v12
	s_waitcnt lgkmcnt(0)
	v_add_f32_e32 v0, v2, v1
	v_sub_f32_e32 v1, v1, v2
                                        ; implicit-def: $vgpr2_vgpr3
	s_and_saveexec_b64 s[4:5], s[0:1]
	s_xor_b64 s[4:5], exec, s[4:5]
	s_cbranch_execz .LBB0_15
; %bb.14:
	v_mov_b32_e32 v13, 0
	v_lshlrev_b64 v[2:3], 3, v[12:13]
	v_mov_b32_e32 v5, s9
	v_add_co_u32_e64 v2, s[0:1], s8, v2
	v_addc_co_u32_e64 v3, s[0:1], v5, v3, s[0:1]
	global_load_dwordx2 v[2:3], v[2:3], off offset:2176
	ds_read_b32 v5, v4 offset:2244
	ds_read_b32 v6, v20 offset:4
	s_waitcnt lgkmcnt(0)
	v_add_f32_e32 v9, v5, v6
	v_sub_f32_e32 v5, v6, v5
	s_waitcnt vmcnt(0)
	v_fma_f32 v10, v1, v3, v0
	v_fma_f32 v6, v9, v3, v5
	v_fma_f32 v7, -v1, v3, v0
	v_fma_f32 v8, v9, v3, -v5
	v_fma_f32 v5, -v2, v9, v10
	v_fmac_f32_e32 v6, v1, v2
	v_fmac_f32_e32 v7, v2, v9
	v_fmac_f32_e32 v8, v1, v2
	v_mov_b32_e32 v2, v12
	ds_write_b64 v20, v[5:6]
	ds_write_b64 v4, v[7:8] offset:2240
	v_mov_b32_e32 v3, v13
                                        ; implicit-def: $vgpr0
.LBB0_15:
	s_andn2_saveexec_b64 s[0:1], s[4:5]
	s_cbranch_execz .LBB0_17
; %bb.16:
	ds_write_b64 v20, v[0:1]
	v_mov_b32_e32 v5, 0
	ds_read_b64 v[0:1], v5 offset:1120
	v_mov_b32_e32 v2, 0
	v_mov_b32_e32 v3, 0
	s_waitcnt lgkmcnt(0)
	v_add_f32_e32 v0, v0, v0
	v_mul_f32_e32 v1, -2.0, v1
	ds_write_b64 v5, v[0:1] offset:1120
.LBB0_17:
	s_or_b64 exec, exec, s[0:1]
	s_add_u32 s0, s8, 0x880
	v_lshlrev_b64 v[0:1], 3, v[2:3]
	s_addc_u32 s1, s9, 0
	v_mov_b32_e32 v2, s1
	v_add_co_u32_e64 v0, s[0:1], s0, v0
	v_addc_co_u32_e64 v1, s[0:1], v2, v1, s[0:1]
	global_load_dwordx2 v[2:3], v[0:1], off offset:448
	ds_read_b64 v[5:6], v20 offset:448
	ds_read_b64 v[7:8], v4 offset:1792
	v_cmp_gt_u32_e64 s[0:1], 28, v12
	s_waitcnt lgkmcnt(0)
	v_add_f32_e32 v9, v5, v7
	v_add_f32_e32 v10, v8, v6
	v_sub_f32_e32 v11, v5, v7
	v_sub_f32_e32 v5, v6, v8
	s_waitcnt vmcnt(0)
	v_fma_f32 v13, v11, v3, v9
	v_fma_f32 v6, v10, v3, v5
	v_fma_f32 v7, -v11, v3, v9
	v_fma_f32 v8, v10, v3, -v5
	v_fma_f32 v5, -v2, v10, v13
	v_fmac_f32_e32 v6, v11, v2
	v_fmac_f32_e32 v7, v2, v10
	;; [unrolled: 1-line block ×3, first 2 shown]
	ds_write_b64 v20, v[5:6] offset:448
	ds_write_b64 v4, v[7:8] offset:1792
	s_and_saveexec_b64 s[4:5], s[0:1]
	s_cbranch_execz .LBB0_19
; %bb.18:
	global_load_dwordx2 v[0:1], v[0:1], off offset:896
	ds_read_b64 v[2:3], v20 offset:896
	ds_read_b64 v[5:6], v4 offset:1344
	s_waitcnt lgkmcnt(0)
	v_add_f32_e32 v7, v2, v5
	v_add_f32_e32 v8, v6, v3
	v_sub_f32_e32 v9, v2, v5
	v_sub_f32_e32 v3, v3, v6
	s_waitcnt vmcnt(0)
	v_fma_f32 v10, v9, v1, v7
	v_fma_f32 v2, v8, v1, v3
	v_fma_f32 v5, -v9, v1, v7
	v_fma_f32 v6, v8, v1, -v3
	v_fma_f32 v1, -v0, v8, v10
	v_fmac_f32_e32 v2, v9, v0
	v_fmac_f32_e32 v5, v0, v8
	;; [unrolled: 1-line block ×3, first 2 shown]
	ds_write_b64 v20, v[1:2] offset:896
	ds_write_b64 v4, v[5:6] offset:1344
.LBB0_19:
	s_or_b64 exec, exec, s[4:5]
	s_waitcnt lgkmcnt(0)
	; wave barrier
	s_waitcnt lgkmcnt(0)
	s_waitcnt lgkmcnt(0)
	; wave barrier
	s_waitcnt lgkmcnt(0)
	ds_read2_b64 v[0:3], v20 offset1:35
	ds_read2_b64 v[4:7], v20 offset0:140 offset1:175
	ds_read2_b64 v[8:11], v20 offset0:70 offset1:105
	;; [unrolled: 1-line block ×3, first 2 shown]
	v_cmp_gt_u32_e64 s[0:1], 35, v12
	s_waitcnt lgkmcnt(0)
	v_sub_f32_e32 v13, v0, v4
	v_sub_f32_e32 v21, v1, v5
	;; [unrolled: 1-line block ×8, first 2 shown]
	v_fma_f32 v0, v0, 2.0, -v13
	v_fma_f32 v1, v1, 2.0, -v21
	v_fma_f32 v2, v2, 2.0, -v6
	v_fma_f32 v3, v3, 2.0, -v7
	v_fma_f32 v4, v8, 2.0, -v16
	v_fma_f32 v5, v9, 2.0, -v17
	v_fma_f32 v8, v10, 2.0, -v18
	v_fma_f32 v9, v11, 2.0, -v19
	v_sub_f32_e32 v10, v0, v4
	v_sub_f32_e32 v11, v1, v5
	;; [unrolled: 1-line block ×4, first 2 shown]
	v_fma_f32 v0, v0, 2.0, -v10
	v_fma_f32 v1, v1, 2.0, -v11
	;; [unrolled: 1-line block ×4, first 2 shown]
	v_add_f32_e32 v22, v13, v17
	v_sub_f32_e32 v23, v21, v16
	v_sub_f32_e32 v4, v0, v2
	;; [unrolled: 1-line block ×3, first 2 shown]
	v_fma_f32 v2, v13, 2.0, -v22
	v_fma_f32 v3, v21, 2.0, -v23
	v_add_f32_e32 v13, v6, v19
	v_sub_f32_e32 v21, v7, v18
	v_fma_f32 v16, v6, 2.0, -v13
	v_fma_f32 v17, v7, 2.0, -v21
	v_mov_b32_e32 v6, v2
	v_mov_b32_e32 v7, v3
	;; [unrolled: 1-line block ×4, first 2 shown]
	v_fmac_f32_e32 v6, 0xbf3504f3, v16
	v_fmac_f32_e32 v7, 0xbf3504f3, v17
	;; [unrolled: 1-line block ×6, first 2 shown]
	v_add_f32_e32 v16, v10, v9
	v_sub_f32_e32 v17, v11, v8
	v_fmac_f32_e32 v18, 0x3f3504f3, v21
	v_fmac_f32_e32 v19, 0xbf3504f3, v13
	v_fma_f32 v0, v0, 2.0, -v4
	v_fma_f32 v1, v1, 2.0, -v5
	v_fma_f32 v2, v2, 2.0, -v6
	v_fma_f32 v3, v3, 2.0, -v7
	v_fma_f32 v8, v10, 2.0, -v16
	v_fma_f32 v9, v11, 2.0, -v17
	v_fma_f32 v10, v22, 2.0, -v18
	v_fma_f32 v11, v23, 2.0, -v19
	; wave barrier
	s_and_saveexec_b64 s[4:5], s[0:1]
	s_cbranch_execz .LBB0_21
; %bb.20:
	v_mad_u32_u24 v13, v12, 56, v20
	ds_write2_b64 v13, v[0:1], v[2:3] offset1:1
	ds_write2_b64 v13, v[8:9], v[10:11] offset0:2 offset1:3
	ds_write2_b64 v13, v[4:5], v[6:7] offset0:4 offset1:5
	;; [unrolled: 1-line block ×3, first 2 shown]
.LBB0_21:
	s_or_b64 exec, exec, s[4:5]
	v_cmp_gt_u32_e64 s[0:1], 40, v12
	s_waitcnt lgkmcnt(0)
	; wave barrier
	s_waitcnt lgkmcnt(0)
	s_and_saveexec_b64 s[4:5], s[0:1]
	s_cbranch_execz .LBB0_23
; %bb.22:
	ds_read2_b64 v[0:3], v20 offset1:40
	ds_read2_b64 v[8:11], v20 offset0:80 offset1:120
	ds_read2_b64 v[4:7], v20 offset0:160 offset1:200
	ds_read_b64 v[16:17], v20 offset:1920
.LBB0_23:
	s_or_b64 exec, exec, s[4:5]
	s_waitcnt lgkmcnt(0)
	; wave barrier
	s_waitcnt lgkmcnt(0)
	s_and_saveexec_b64 s[4:5], s[0:1]
	s_cbranch_execz .LBB0_25
; %bb.24:
	v_and_b32_e32 v13, 7, v12
	v_mul_u32_u24_e32 v18, 6, v13
	v_lshlrev_b32_e32 v18, 3, v18
	global_load_dwordx4 v[21:24], v18, s[8:9] offset:32
	global_load_dwordx4 v[25:28], v18, s[8:9] offset:16
	global_load_dwordx4 v[29:32], v18, s[8:9]
	s_mov_b32 s1, 0x3eae86e6
	s_mov_b32 s0, 0xbf5ff5aa
	;; [unrolled: 1-line block ×4, first 2 shown]
	s_waitcnt vmcnt(2)
	v_mul_f32_e32 v18, v17, v24
	v_mul_f32_e32 v19, v16, v24
	;; [unrolled: 1-line block ×3, first 2 shown]
	v_fmac_f32_e32 v18, v16, v23
	v_fma_f32 v16, v17, v23, -v19
	v_mul_f32_e32 v17, v6, v22
	s_waitcnt vmcnt(1)
	v_mul_f32_e32 v19, v5, v28
	v_fmac_f32_e32 v24, v6, v21
	v_fma_f32 v6, v7, v21, -v17
	v_mul_f32_e32 v7, v4, v28
	v_fmac_f32_e32 v19, v4, v27
	v_fma_f32 v4, v5, v27, -v7
	s_waitcnt vmcnt(0)
	v_mul_f32_e32 v5, v8, v32
	v_mul_f32_e32 v7, v3, v30
	;; [unrolled: 1-line block ×6, first 2 shown]
	v_fma_f32 v5, v9, v31, -v5
	v_fmac_f32_e32 v7, v2, v29
	v_fma_f32 v2, v3, v29, -v23
	v_fmac_f32_e32 v17, v10, v25
	v_fma_f32 v10, v11, v25, -v21
	v_fmac_f32_e32 v22, v8, v31
	v_add_f32_e32 v3, v2, v16
	v_add_f32_e32 v9, v5, v6
	;; [unrolled: 1-line block ×6, first 2 shown]
	v_sub_f32_e32 v7, v7, v18
	v_sub_f32_e32 v17, v19, v17
	;; [unrolled: 1-line block ×6, first 2 shown]
	v_add_f32_e32 v6, v9, v3
	v_add_f32_e32 v10, v23, v11
	v_sub_f32_e32 v16, v3, v8
	v_sub_f32_e32 v19, v8, v9
	;; [unrolled: 1-line block ×8, first 2 shown]
	v_add_f32_e32 v17, v17, v18
	v_sub_f32_e32 v18, v18, v7
	v_sub_f32_e32 v25, v2, v4
	;; [unrolled: 1-line block ×3, first 2 shown]
	v_add_f32_e32 v4, v4, v5
	v_add_f32_e32 v6, v8, v6
	;; [unrolled: 1-line block ×4, first 2 shown]
	v_mul_f32_e32 v4, 0xbf5ff5aa, v18
	v_add_f32_e32 v1, v1, v6
	v_sub_f32_e32 v5, v5, v2
	v_add_f32_e32 v7, v17, v7
	v_mul_f32_e32 v2, 0x3f08b237, v24
	v_mul_f32_e32 v16, 0x3f4a47b2, v16
	;; [unrolled: 1-line block ×3, first 2 shown]
	v_add_f32_e32 v0, v0, v8
	v_fma_f32 v27, v23, s1, -v4
	v_mov_b32_e32 v4, v1
	v_mul_f32_e32 v21, 0x3f08b237, v26
	v_fma_f32 v18, v18, s0, -v2
	v_mov_b32_e32 v26, v2
	v_fma_f32 v2, v3, s7, -v17
	v_fma_f32 v3, v3, s6, -v16
	v_fmac_f32_e32 v16, 0x3d64c772, v19
	v_mov_b32_e32 v19, v0
	v_fmac_f32_e32 v4, 0xbf955555, v6
	v_fmac_f32_e32 v19, 0xbf955555, v8
	v_add_f32_e32 v16, v16, v4
	v_add_f32_e32 v8, v3, v4
	;; [unrolled: 1-line block ×3, first 2 shown]
	v_mul_f32_e32 v2, 0x3f4a47b2, v9
	v_mov_b32_e32 v3, v2
	v_mul_f32_e32 v24, 0xbf5ff5aa, v5
	v_fmac_f32_e32 v18, 0xbee1c552, v7
	v_fma_f32 v6, v5, s0, -v21
	v_fmac_f32_e32 v3, 0x3d64c772, v22
	v_mul_f32_e32 v5, 0x3d64c772, v22
	v_fma_f32 v2, v11, s6, -v2
	v_fma_f32 v17, v25, s1, -v24
	v_mov_b32_e32 v24, v21
	v_add_f32_e32 v21, v3, v19
	v_add_f32_e32 v22, v2, v19
	v_fma_f32 v2, v11, s7, -v5
	v_sub_f32_e32 v3, v4, v18
	v_add_f32_e32 v5, v18, v4
	v_lshrrev_b32_e32 v18, 3, v12
	v_fmac_f32_e32 v26, 0xbeae86e6, v23
	v_fmac_f32_e32 v24, 0xbeae86e6, v25
	v_mul_u32_u24_e32 v18, 56, v18
	v_fmac_f32_e32 v26, 0xbee1c552, v7
	v_fmac_f32_e32 v27, 0xbee1c552, v7
	v_add_f32_e32 v7, v2, v19
	v_fmac_f32_e32 v6, 0xbee1c552, v10
	v_fmac_f32_e32 v17, 0xbee1c552, v10
	;; [unrolled: 1-line block ×3, first 2 shown]
	v_or_b32_e32 v13, v18, v13
	v_add_f32_e32 v2, v6, v7
	v_sub_f32_e32 v4, v7, v6
	v_add_f32_e32 v7, v27, v8
	v_sub_f32_e32 v6, v22, v17
	v_sub_f32_e32 v9, v8, v27
	v_add_f32_e32 v8, v17, v22
	v_add_f32_e32 v11, v26, v16
	v_sub_f32_e32 v17, v16, v26
	v_add_f32_e32 v16, v24, v21
	v_lshl_add_u32 v13, v13, 3, 0
	v_sub_f32_e32 v10, v21, v24
	ds_write2_b64 v13, v[0:1], v[16:17] offset1:8
	ds_write2_b64 v13, v[8:9], v[4:5] offset0:16 offset1:24
	ds_write2_b64 v13, v[2:3], v[6:7] offset0:32 offset1:40
	ds_write_b64 v13, v[10:11] offset:384
.LBB0_25:
	s_or_b64 exec, exec, s[4:5]
	v_lshlrev_b32_e32 v0, 2, v12
	v_mov_b32_e32 v1, 0
	v_lshlrev_b64 v[2:3], 3, v[0:1]
	v_mov_b32_e32 v0, s9
	v_add_co_u32_e64 v10, s[0:1], s8, v2
	v_addc_co_u32_e64 v11, s[0:1], v0, v3, s[0:1]
	s_waitcnt lgkmcnt(0)
	; wave barrier
	s_waitcnt lgkmcnt(0)
	global_load_dwordx4 v[2:5], v[10:11], off offset:384
	global_load_dwordx4 v[6:9], v[10:11], off offset:400
	ds_read2_b64 v[16:19], v20 offset0:56 offset1:112
	ds_read2_b64 v[21:24], v20 offset0:168 offset1:224
	ds_read2_b32 v[10:11], v20 offset1:1
	s_waitcnt lgkmcnt(0)
	; wave barrier
	s_waitcnt vmcnt(1) lgkmcnt(0)
	v_mul_f32_e32 v0, v3, v17
	v_mul_f32_e32 v3, v3, v16
	;; [unrolled: 1-line block ×4, first 2 shown]
	s_waitcnt vmcnt(0)
	v_mul_f32_e32 v25, v7, v22
	v_mul_f32_e32 v7, v7, v21
	;; [unrolled: 1-line block ×4, first 2 shown]
	v_fmac_f32_e32 v0, v2, v16
	v_fma_f32 v2, v2, v17, -v3
	v_fmac_f32_e32 v13, v4, v18
	v_fma_f32 v4, v4, v19, -v5
	;; [unrolled: 2-line block ×4, first 2 shown]
	v_add_f32_e32 v3, v13, v25
	v_sub_f32_e32 v7, v0, v13
	v_sub_f32_e32 v8, v26, v25
	v_add_f32_e32 v22, v4, v5
	v_add_f32_e32 v27, v11, v2
	;; [unrolled: 1-line block ×3, first 2 shown]
	v_sub_f32_e32 v16, v2, v9
	v_add_f32_e32 v18, v0, v26
	v_sub_f32_e32 v19, v13, v0
	v_sub_f32_e32 v21, v25, v26
	;; [unrolled: 1-line block ×4, first 2 shown]
	v_add_f32_e32 v30, v2, v9
	v_add_f32_e32 v32, v7, v8
	v_fma_f32 v2, -0.5, v3, v10
	v_fma_f32 v3, -0.5, v22, v11
	v_add_f32_e32 v7, v27, v4
	v_sub_f32_e32 v17, v4, v5
	v_sub_f32_e32 v24, v9, v5
	;; [unrolled: 1-line block ×4, first 2 shown]
	v_fma_f32 v10, -0.5, v18, v10
	v_add_f32_e32 v18, v19, v21
	v_add_f32_e32 v6, v6, v13
	v_fmac_f32_e32 v11, -0.5, v30
	v_mov_b32_e32 v4, v2
	v_add_f32_e32 v21, v7, v5
	v_mov_b32_e32 v5, v3
	v_sub_f32_e32 v28, v13, v25
	v_add_f32_e32 v8, v6, v25
	v_mov_b32_e32 v6, v10
	v_mov_b32_e32 v7, v11
	v_fmac_f32_e32 v4, 0xbf737871, v16
	v_fmac_f32_e32 v5, 0x3f737871, v0
	v_add_f32_e32 v19, v23, v24
	v_fmac_f32_e32 v2, 0x3f737871, v16
	v_fmac_f32_e32 v10, 0xbf737871, v17
	;; [unrolled: 1-line block ×8, first 2 shown]
	v_add_f32_e32 v13, v29, v31
	v_add_f32_e32 v8, v8, v26
	;; [unrolled: 1-line block ×3, first 2 shown]
	v_fmac_f32_e32 v2, 0x3f167918, v17
	v_fmac_f32_e32 v10, 0x3f167918, v16
	;; [unrolled: 1-line block ×14, first 2 shown]
	ds_write2_b64 v20, v[8:9], v[4:5] offset1:56
	ds_write2_b64 v20, v[6:7], v[10:11] offset0:112 offset1:168
	ds_write_b64 v20, v[2:3] offset:1792
	s_waitcnt lgkmcnt(0)
	; wave barrier
	s_waitcnt lgkmcnt(0)
	s_and_saveexec_b64 s[0:1], vcc
	s_cbranch_execz .LBB0_27
; %bb.26:
	v_lshl_add_u32 v8, v12, 3, 0
	v_mov_b32_e32 v13, v1
	ds_read2_b64 v[2:5], v8 offset1:56
	v_mov_b32_e32 v0, s3
	v_add_co_u32_e32 v9, vcc, s2, v14
	v_lshlrev_b64 v[6:7], 3, v[12:13]
	v_addc_co_u32_e32 v10, vcc, v0, v15, vcc
	v_add_co_u32_e32 v6, vcc, v9, v6
	v_addc_co_u32_e32 v7, vcc, v10, v7, vcc
	v_add_u32_e32 v0, 56, v12
	s_waitcnt lgkmcnt(0)
	global_store_dwordx2 v[6:7], v[2:3], off
	v_lshlrev_b64 v[2:3], 3, v[0:1]
	v_add_u32_e32 v0, 0x70, v12
	v_add_co_u32_e32 v2, vcc, v9, v2
	v_addc_co_u32_e32 v3, vcc, v10, v3, vcc
	global_store_dwordx2 v[2:3], v[4:5], off
	ds_read2_b64 v[2:5], v8 offset0:112 offset1:168
	v_lshlrev_b64 v[6:7], 3, v[0:1]
	v_add_u32_e32 v0, 0xa8, v12
	v_add_co_u32_e32 v6, vcc, v9, v6
	v_addc_co_u32_e32 v7, vcc, v10, v7, vcc
	s_waitcnt lgkmcnt(0)
	global_store_dwordx2 v[6:7], v[2:3], off
	v_lshlrev_b64 v[2:3], 3, v[0:1]
	v_add_u32_e32 v0, 0xe0, v12
	v_add_co_u32_e32 v2, vcc, v9, v2
	v_addc_co_u32_e32 v3, vcc, v10, v3, vcc
	global_store_dwordx2 v[2:3], v[4:5], off
	ds_read_b64 v[2:3], v8 offset:1792
	v_lshlrev_b64 v[0:1], 3, v[0:1]
	v_add_co_u32_e32 v0, vcc, v9, v0
	v_addc_co_u32_e32 v1, vcc, v10, v1, vcc
	s_waitcnt lgkmcnt(0)
	global_store_dwordx2 v[0:1], v[2:3], off
.LBB0_27:
	s_endpgm
	.section	.rodata,"a",@progbits
	.p2align	6, 0x0
	.amdhsa_kernel fft_rtc_back_len280_factors_8_7_5_wgs_56_tpt_56_sp_ip_CI_unitstride_sbrr_C2R_dirReg
		.amdhsa_group_segment_fixed_size 0
		.amdhsa_private_segment_fixed_size 0
		.amdhsa_kernarg_size 88
		.amdhsa_user_sgpr_count 6
		.amdhsa_user_sgpr_private_segment_buffer 1
		.amdhsa_user_sgpr_dispatch_ptr 0
		.amdhsa_user_sgpr_queue_ptr 0
		.amdhsa_user_sgpr_kernarg_segment_ptr 1
		.amdhsa_user_sgpr_dispatch_id 0
		.amdhsa_user_sgpr_flat_scratch_init 0
		.amdhsa_user_sgpr_private_segment_size 0
		.amdhsa_uses_dynamic_stack 0
		.amdhsa_system_sgpr_private_segment_wavefront_offset 0
		.amdhsa_system_sgpr_workgroup_id_x 1
		.amdhsa_system_sgpr_workgroup_id_y 0
		.amdhsa_system_sgpr_workgroup_id_z 0
		.amdhsa_system_sgpr_workgroup_info 0
		.amdhsa_system_vgpr_workitem_id 0
		.amdhsa_next_free_vgpr 33
		.amdhsa_next_free_sgpr 22
		.amdhsa_reserve_vcc 1
		.amdhsa_reserve_flat_scratch 0
		.amdhsa_float_round_mode_32 0
		.amdhsa_float_round_mode_16_64 0
		.amdhsa_float_denorm_mode_32 3
		.amdhsa_float_denorm_mode_16_64 3
		.amdhsa_dx10_clamp 1
		.amdhsa_ieee_mode 1
		.amdhsa_fp16_overflow 0
		.amdhsa_exception_fp_ieee_invalid_op 0
		.amdhsa_exception_fp_denorm_src 0
		.amdhsa_exception_fp_ieee_div_zero 0
		.amdhsa_exception_fp_ieee_overflow 0
		.amdhsa_exception_fp_ieee_underflow 0
		.amdhsa_exception_fp_ieee_inexact 0
		.amdhsa_exception_int_div_zero 0
	.end_amdhsa_kernel
	.text
.Lfunc_end0:
	.size	fft_rtc_back_len280_factors_8_7_5_wgs_56_tpt_56_sp_ip_CI_unitstride_sbrr_C2R_dirReg, .Lfunc_end0-fft_rtc_back_len280_factors_8_7_5_wgs_56_tpt_56_sp_ip_CI_unitstride_sbrr_C2R_dirReg
                                        ; -- End function
	.section	.AMDGPU.csdata,"",@progbits
; Kernel info:
; codeLenInByte = 3892
; NumSgprs: 26
; NumVgprs: 33
; ScratchSize: 0
; MemoryBound: 0
; FloatMode: 240
; IeeeMode: 1
; LDSByteSize: 0 bytes/workgroup (compile time only)
; SGPRBlocks: 3
; VGPRBlocks: 8
; NumSGPRsForWavesPerEU: 26
; NumVGPRsForWavesPerEU: 33
; Occupancy: 7
; WaveLimiterHint : 1
; COMPUTE_PGM_RSRC2:SCRATCH_EN: 0
; COMPUTE_PGM_RSRC2:USER_SGPR: 6
; COMPUTE_PGM_RSRC2:TRAP_HANDLER: 0
; COMPUTE_PGM_RSRC2:TGID_X_EN: 1
; COMPUTE_PGM_RSRC2:TGID_Y_EN: 0
; COMPUTE_PGM_RSRC2:TGID_Z_EN: 0
; COMPUTE_PGM_RSRC2:TIDIG_COMP_CNT: 0
	.type	__hip_cuid_fcab95a84cc0d2b,@object ; @__hip_cuid_fcab95a84cc0d2b
	.section	.bss,"aw",@nobits
	.globl	__hip_cuid_fcab95a84cc0d2b
__hip_cuid_fcab95a84cc0d2b:
	.byte	0                               ; 0x0
	.size	__hip_cuid_fcab95a84cc0d2b, 1

	.ident	"AMD clang version 19.0.0git (https://github.com/RadeonOpenCompute/llvm-project roc-6.4.0 25133 c7fe45cf4b819c5991fe208aaa96edf142730f1d)"
	.section	".note.GNU-stack","",@progbits
	.addrsig
	.addrsig_sym __hip_cuid_fcab95a84cc0d2b
	.amdgpu_metadata
---
amdhsa.kernels:
  - .args:
      - .actual_access:  read_only
        .address_space:  global
        .offset:         0
        .size:           8
        .value_kind:     global_buffer
      - .offset:         8
        .size:           8
        .value_kind:     by_value
      - .actual_access:  read_only
        .address_space:  global
        .offset:         16
        .size:           8
        .value_kind:     global_buffer
      - .actual_access:  read_only
        .address_space:  global
        .offset:         24
        .size:           8
        .value_kind:     global_buffer
      - .offset:         32
        .size:           8
        .value_kind:     by_value
      - .actual_access:  read_only
        .address_space:  global
        .offset:         40
        .size:           8
        .value_kind:     global_buffer
      - .actual_access:  read_only
        .address_space:  global
        .offset:         48
        .size:           8
        .value_kind:     global_buffer
      - .offset:         56
        .size:           4
        .value_kind:     by_value
      - .actual_access:  read_only
        .address_space:  global
        .offset:         64
        .size:           8
        .value_kind:     global_buffer
      - .actual_access:  read_only
        .address_space:  global
        .offset:         72
        .size:           8
        .value_kind:     global_buffer
      - .address_space:  global
        .offset:         80
        .size:           8
        .value_kind:     global_buffer
    .group_segment_fixed_size: 0
    .kernarg_segment_align: 8
    .kernarg_segment_size: 88
    .language:       OpenCL C
    .language_version:
      - 2
      - 0
    .max_flat_workgroup_size: 56
    .name:           fft_rtc_back_len280_factors_8_7_5_wgs_56_tpt_56_sp_ip_CI_unitstride_sbrr_C2R_dirReg
    .private_segment_fixed_size: 0
    .sgpr_count:     26
    .sgpr_spill_count: 0
    .symbol:         fft_rtc_back_len280_factors_8_7_5_wgs_56_tpt_56_sp_ip_CI_unitstride_sbrr_C2R_dirReg.kd
    .uniform_work_group_size: 1
    .uses_dynamic_stack: false
    .vgpr_count:     33
    .vgpr_spill_count: 0
    .wavefront_size: 64
amdhsa.target:   amdgcn-amd-amdhsa--gfx906
amdhsa.version:
  - 1
  - 2
...

	.end_amdgpu_metadata
